;; amdgpu-corpus repo=ROCm/rocFFT kind=compiled arch=gfx906 opt=O3
	.text
	.amdgcn_target "amdgcn-amd-amdhsa--gfx906"
	.amdhsa_code_object_version 6
	.protected	fft_rtc_back_len169_factors_13_13_wgs_247_tpt_13_halfLds_dp_op_CI_CI_sbrr_dirReg ; -- Begin function fft_rtc_back_len169_factors_13_13_wgs_247_tpt_13_halfLds_dp_op_CI_CI_sbrr_dirReg
	.globl	fft_rtc_back_len169_factors_13_13_wgs_247_tpt_13_halfLds_dp_op_CI_CI_sbrr_dirReg
	.p2align	8
	.type	fft_rtc_back_len169_factors_13_13_wgs_247_tpt_13_halfLds_dp_op_CI_CI_sbrr_dirReg,@function
fft_rtc_back_len169_factors_13_13_wgs_247_tpt_13_halfLds_dp_op_CI_CI_sbrr_dirReg: ; @fft_rtc_back_len169_factors_13_13_wgs_247_tpt_13_halfLds_dp_op_CI_CI_sbrr_dirReg
; %bb.0:
	s_load_dwordx4 s[16:19], s[4:5], 0x18
	s_load_dwordx4 s[12:15], s[4:5], 0x0
	;; [unrolled: 1-line block ×3, first 2 shown]
	v_mul_u32_u24_e32 v1, 0x13b2, v0
	v_lshrrev_b32_e32 v1, 16, v1
	v_mad_u64_u32 v[56:57], s[0:1], s6, 19, v[1:2]
	s_waitcnt lgkmcnt(0)
	s_load_dwordx2 s[20:21], s[16:17], 0x0
	s_load_dwordx2 s[2:3], s[18:19], 0x0
	v_mov_b32_e32 v4, 0
	v_mov_b32_e32 v1, 0
	v_cmp_lt_u64_e64 s[0:1], s[14:15], 2
	v_mov_b32_e32 v5, 0
	v_mov_b32_e32 v57, v1
	;; [unrolled: 1-line block ×4, first 2 shown]
	s_and_b64 vcc, exec, s[0:1]
	v_mov_b32_e32 v52, v4
	v_mov_b32_e32 v55, v57
	s_cbranch_vccnz .LBB0_8
; %bb.1:
	s_load_dwordx2 s[0:1], s[4:5], 0x10
	s_add_u32 s6, s18, 8
	s_addc_u32 s7, s19, 0
	s_add_u32 s22, s16, 8
	v_mov_b32_e32 v4, 0
	s_addc_u32 s23, s17, 0
	v_mov_b32_e32 v5, 0
	s_waitcnt lgkmcnt(0)
	s_add_u32 s24, s0, 8
	v_mov_b32_e32 v53, v5
	v_mov_b32_e32 v6, v56
	s_addc_u32 s25, s1, 0
	s_mov_b64 s[26:27], 1
	v_mov_b32_e32 v52, v4
	v_mov_b32_e32 v7, v57
.LBB0_2:                                ; =>This Inner Loop Header: Depth=1
	s_load_dwordx2 s[28:29], s[24:25], 0x0
                                        ; implicit-def: $vgpr54_vgpr55
	s_waitcnt lgkmcnt(0)
	v_or_b32_e32 v2, s29, v7
	v_cmp_ne_u64_e32 vcc, 0, v[1:2]
	s_and_saveexec_b64 s[0:1], vcc
	s_xor_b64 s[30:31], exec, s[0:1]
	s_cbranch_execz .LBB0_4
; %bb.3:                                ;   in Loop: Header=BB0_2 Depth=1
	v_cvt_f32_u32_e32 v2, s28
	v_cvt_f32_u32_e32 v3, s29
	s_sub_u32 s0, 0, s28
	s_subb_u32 s1, 0, s29
	v_mac_f32_e32 v2, 0x4f800000, v3
	v_rcp_f32_e32 v2, v2
	v_mul_f32_e32 v2, 0x5f7ffffc, v2
	v_mul_f32_e32 v3, 0x2f800000, v2
	v_trunc_f32_e32 v3, v3
	v_mac_f32_e32 v2, 0xcf800000, v3
	v_cvt_u32_f32_e32 v3, v3
	v_cvt_u32_f32_e32 v2, v2
	v_mul_lo_u32 v8, s0, v3
	v_mul_hi_u32 v9, s0, v2
	v_mul_lo_u32 v11, s1, v2
	v_mul_lo_u32 v10, s0, v2
	v_add_u32_e32 v8, v9, v8
	v_add_u32_e32 v8, v8, v11
	v_mul_hi_u32 v9, v2, v10
	v_mul_lo_u32 v11, v2, v8
	v_mul_hi_u32 v13, v2, v8
	v_mul_hi_u32 v12, v3, v10
	v_mul_lo_u32 v10, v3, v10
	v_mul_hi_u32 v14, v3, v8
	v_add_co_u32_e32 v9, vcc, v9, v11
	v_addc_co_u32_e32 v11, vcc, 0, v13, vcc
	v_mul_lo_u32 v8, v3, v8
	v_add_co_u32_e32 v9, vcc, v9, v10
	v_addc_co_u32_e32 v9, vcc, v11, v12, vcc
	v_addc_co_u32_e32 v10, vcc, 0, v14, vcc
	v_add_co_u32_e32 v8, vcc, v9, v8
	v_addc_co_u32_e32 v9, vcc, 0, v10, vcc
	v_add_co_u32_e32 v2, vcc, v2, v8
	v_addc_co_u32_e32 v3, vcc, v3, v9, vcc
	v_mul_lo_u32 v8, s0, v3
	v_mul_hi_u32 v9, s0, v2
	v_mul_lo_u32 v10, s1, v2
	v_mul_lo_u32 v11, s0, v2
	v_add_u32_e32 v8, v9, v8
	v_add_u32_e32 v8, v8, v10
	v_mul_lo_u32 v12, v2, v8
	v_mul_hi_u32 v13, v2, v11
	v_mul_hi_u32 v14, v2, v8
	;; [unrolled: 1-line block ×3, first 2 shown]
	v_mul_lo_u32 v11, v3, v11
	v_mul_hi_u32 v9, v3, v8
	v_add_co_u32_e32 v12, vcc, v13, v12
	v_addc_co_u32_e32 v13, vcc, 0, v14, vcc
	v_mul_lo_u32 v8, v3, v8
	v_add_co_u32_e32 v11, vcc, v12, v11
	v_addc_co_u32_e32 v10, vcc, v13, v10, vcc
	v_addc_co_u32_e32 v9, vcc, 0, v9, vcc
	v_add_co_u32_e32 v8, vcc, v10, v8
	v_addc_co_u32_e32 v9, vcc, 0, v9, vcc
	v_add_co_u32_e32 v8, vcc, v2, v8
	v_addc_co_u32_e32 v9, vcc, v3, v9, vcc
	v_mad_u64_u32 v[2:3], s[0:1], v6, v9, 0
	v_mul_hi_u32 v10, v6, v8
	v_add_co_u32_e32 v10, vcc, v10, v2
	v_addc_co_u32_e32 v11, vcc, 0, v3, vcc
	v_mad_u64_u32 v[2:3], s[0:1], v7, v8, 0
	v_mad_u64_u32 v[8:9], s[0:1], v7, v9, 0
	v_add_co_u32_e32 v2, vcc, v10, v2
	v_addc_co_u32_e32 v2, vcc, v11, v3, vcc
	v_addc_co_u32_e32 v3, vcc, 0, v9, vcc
	v_add_co_u32_e32 v8, vcc, v2, v8
	v_addc_co_u32_e32 v9, vcc, 0, v3, vcc
	v_mul_lo_u32 v10, s29, v8
	v_mul_lo_u32 v11, s28, v9
	v_mad_u64_u32 v[2:3], s[0:1], s28, v8, 0
	v_add3_u32 v3, v3, v11, v10
	v_sub_u32_e32 v10, v7, v3
	v_mov_b32_e32 v11, s29
	v_sub_co_u32_e32 v2, vcc, v6, v2
	v_subb_co_u32_e64 v10, s[0:1], v10, v11, vcc
	v_subrev_co_u32_e64 v11, s[0:1], s28, v2
	v_subbrev_co_u32_e64 v10, s[0:1], 0, v10, s[0:1]
	v_cmp_le_u32_e64 s[0:1], s29, v10
	v_cndmask_b32_e64 v12, 0, -1, s[0:1]
	v_cmp_le_u32_e64 s[0:1], s28, v11
	v_cndmask_b32_e64 v11, 0, -1, s[0:1]
	v_cmp_eq_u32_e64 s[0:1], s29, v10
	v_cndmask_b32_e64 v10, v12, v11, s[0:1]
	v_add_co_u32_e64 v11, s[0:1], 2, v8
	v_addc_co_u32_e64 v12, s[0:1], 0, v9, s[0:1]
	v_add_co_u32_e64 v13, s[0:1], 1, v8
	v_addc_co_u32_e64 v14, s[0:1], 0, v9, s[0:1]
	v_subb_co_u32_e32 v3, vcc, v7, v3, vcc
	v_cmp_ne_u32_e64 s[0:1], 0, v10
	v_cmp_le_u32_e32 vcc, s29, v3
	v_cndmask_b32_e64 v10, v14, v12, s[0:1]
	v_cndmask_b32_e64 v12, 0, -1, vcc
	v_cmp_le_u32_e32 vcc, s28, v2
	v_cndmask_b32_e64 v2, 0, -1, vcc
	v_cmp_eq_u32_e32 vcc, s29, v3
	v_cndmask_b32_e32 v2, v12, v2, vcc
	v_cmp_ne_u32_e32 vcc, 0, v2
	v_cndmask_b32_e64 v2, v13, v11, s[0:1]
	v_cndmask_b32_e32 v55, v9, v10, vcc
	v_cndmask_b32_e32 v54, v8, v2, vcc
.LBB0_4:                                ;   in Loop: Header=BB0_2 Depth=1
	s_andn2_saveexec_b64 s[0:1], s[30:31]
	s_cbranch_execz .LBB0_6
; %bb.5:                                ;   in Loop: Header=BB0_2 Depth=1
	v_cvt_f32_u32_e32 v2, s28
	s_sub_i32 s30, 0, s28
	v_mov_b32_e32 v55, v1
	v_rcp_iflag_f32_e32 v2, v2
	v_mul_f32_e32 v2, 0x4f7ffffe, v2
	v_cvt_u32_f32_e32 v2, v2
	v_mul_lo_u32 v3, s30, v2
	v_mul_hi_u32 v3, v2, v3
	v_add_u32_e32 v2, v2, v3
	v_mul_hi_u32 v2, v6, v2
	v_mul_lo_u32 v3, v2, s28
	v_add_u32_e32 v8, 1, v2
	v_sub_u32_e32 v3, v6, v3
	v_subrev_u32_e32 v9, s28, v3
	v_cmp_le_u32_e32 vcc, s28, v3
	v_cndmask_b32_e32 v3, v3, v9, vcc
	v_cndmask_b32_e32 v2, v2, v8, vcc
	v_add_u32_e32 v8, 1, v2
	v_cmp_le_u32_e32 vcc, s28, v3
	v_cndmask_b32_e32 v54, v2, v8, vcc
.LBB0_6:                                ;   in Loop: Header=BB0_2 Depth=1
	s_or_b64 exec, exec, s[0:1]
	v_mul_lo_u32 v8, v55, s28
	v_mul_lo_u32 v9, v54, s29
	v_mad_u64_u32 v[2:3], s[0:1], v54, s28, 0
	s_load_dwordx2 s[0:1], s[22:23], 0x0
	s_load_dwordx2 s[28:29], s[6:7], 0x0
	v_add3_u32 v3, v3, v9, v8
	v_sub_co_u32_e32 v2, vcc, v6, v2
	v_subb_co_u32_e32 v3, vcc, v7, v3, vcc
	s_waitcnt lgkmcnt(0)
	v_mul_lo_u32 v6, s0, v3
	v_mul_lo_u32 v7, s1, v2
	v_mad_u64_u32 v[4:5], s[0:1], s0, v2, v[4:5]
	v_mul_lo_u32 v3, s28, v3
	v_mul_lo_u32 v8, s29, v2
	v_mad_u64_u32 v[52:53], s[0:1], s28, v2, v[52:53]
	s_add_u32 s26, s26, 1
	s_addc_u32 s27, s27, 0
	s_add_u32 s6, s6, 8
	v_add3_u32 v53, v8, v53, v3
	s_addc_u32 s7, s7, 0
	v_mov_b32_e32 v2, s14
	s_add_u32 s22, s22, 8
	v_mov_b32_e32 v3, s15
	s_addc_u32 s23, s23, 0
	v_cmp_ge_u64_e32 vcc, s[26:27], v[2:3]
	s_add_u32 s24, s24, 8
	v_add3_u32 v5, v7, v5, v6
	s_addc_u32 s25, s25, 0
	s_cbranch_vccnz .LBB0_8
; %bb.7:                                ;   in Loop: Header=BB0_2 Depth=1
	v_mov_b32_e32 v6, v54
	v_mov_b32_e32 v7, v55
	s_branch .LBB0_2
.LBB0_8:
	s_load_dwordx2 s[0:1], s[4:5], 0x28
	s_lshl_b64 s[6:7], s[14:15], 3
	s_add_u32 s38, s18, s6
	s_addc_u32 s39, s19, s7
                                        ; implicit-def: $sgpr14
                                        ; implicit-def: $vgpr73
	s_waitcnt lgkmcnt(0)
	v_cmp_gt_u64_e32 vcc, s[0:1], v[54:55]
	v_cmp_le_u64_e64 s[0:1], s[0:1], v[54:55]
	s_and_saveexec_b64 s[4:5], s[0:1]
	s_xor_b64 s[0:1], exec, s[4:5]
; %bb.9:
	s_mov_b32 s4, 0x13b13b14
	v_mul_hi_u32 v1, v0, s4
	s_mov_b32 s14, 0
                                        ; implicit-def: $vgpr4_vgpr5
	v_mul_u32_u24_e32 v1, 13, v1
	v_sub_u32_e32 v73, v0, v1
                                        ; implicit-def: $vgpr0
; %bb.10:
	s_or_saveexec_b64 s[4:5], s[0:1]
	v_mov_b32_e32 v132, s14
                                        ; implicit-def: $vgpr6_vgpr7
                                        ; implicit-def: $vgpr10_vgpr11
                                        ; implicit-def: $vgpr14_vgpr15
                                        ; implicit-def: $vgpr18_vgpr19
                                        ; implicit-def: $vgpr22_vgpr23
                                        ; implicit-def: $vgpr26_vgpr27
                                        ; implicit-def: $vgpr30_vgpr31
                                        ; implicit-def: $vgpr38_vgpr39
                                        ; implicit-def: $vgpr46_vgpr47
                                        ; implicit-def: $vgpr50_vgpr51
                                        ; implicit-def: $vgpr42_vgpr43
                                        ; implicit-def: $vgpr34_vgpr35
                                        ; implicit-def: $vgpr2_vgpr3
	s_xor_b64 exec, exec, s[4:5]
	s_cbranch_execz .LBB0_12
; %bb.11:
	s_add_u32 s0, s16, s6
	s_mov_b32 s6, 0x13b13b14
	s_addc_u32 s1, s17, s7
	v_mul_hi_u32 v1, v0, s6
	s_load_dwordx2 s[0:1], s[0:1], 0x0
	v_mul_u32_u24_e32 v1, 13, v1
	v_sub_u32_e32 v73, v0, v1
	s_waitcnt lgkmcnt(0)
	v_mul_lo_u32 v8, s1, v54
	v_mad_u64_u32 v[0:1], s[6:7], s20, v73, 0
	v_mul_lo_u32 v9, s0, v55
	v_mad_u64_u32 v[2:3], s[0:1], s0, v54, 0
	v_mov_b32_e32 v132, v73
	v_mad_u64_u32 v[6:7], s[0:1], s21, v73, v[1:2]
	v_add3_u32 v3, v3, v9, v8
	v_lshlrev_b64 v[2:3], 4, v[2:3]
	v_mov_b32_e32 v1, v6
	v_mov_b32_e32 v6, s9
	v_add_co_u32_e64 v7, s[0:1], s8, v2
	v_add_u32_e32 v8, 13, v73
	v_addc_co_u32_e64 v6, s[0:1], v6, v3, s[0:1]
	v_lshlrev_b64 v[2:3], 4, v[4:5]
	v_mad_u64_u32 v[4:5], s[0:1], s20, v8, 0
	v_add_co_u32_e64 v9, s[0:1], v7, v2
	v_mov_b32_e32 v2, v5
	v_addc_co_u32_e64 v10, s[0:1], v6, v3, s[0:1]
	v_mad_u64_u32 v[2:3], s[0:1], s21, v8, v[2:3]
	v_add_u32_e32 v3, 26, v73
	v_mad_u64_u32 v[6:7], s[0:1], s20, v3, 0
	v_lshlrev_b64 v[0:1], 4, v[0:1]
	v_mov_b32_e32 v5, v2
	v_add_co_u32_e64 v57, s[0:1], v9, v0
	v_mov_b32_e32 v2, v7
	v_addc_co_u32_e64 v58, s[0:1], v10, v1, s[0:1]
	v_lshlrev_b64 v[0:1], 4, v[4:5]
	v_mad_u64_u32 v[2:3], s[0:1], s21, v3, v[2:3]
	v_add_u32_e32 v5, 39, v73
	v_mad_u64_u32 v[3:4], s[0:1], s20, v5, 0
	v_add_co_u32_e64 v59, s[0:1], v9, v0
	v_mov_b32_e32 v7, v2
	v_mov_b32_e32 v2, v4
	v_addc_co_u32_e64 v60, s[0:1], v10, v1, s[0:1]
	v_lshlrev_b64 v[0:1], 4, v[6:7]
	v_mad_u64_u32 v[4:5], s[0:1], s21, v5, v[2:3]
	v_add_u32_e32 v7, 52, v73
	v_mad_u64_u32 v[5:6], s[0:1], s20, v7, 0
	v_add_co_u32_e64 v61, s[0:1], v9, v0
	v_mov_b32_e32 v2, v6
	v_addc_co_u32_e64 v62, s[0:1], v10, v1, s[0:1]
	v_lshlrev_b64 v[0:1], 4, v[3:4]
	v_mad_u64_u32 v[2:3], s[0:1], s21, v7, v[2:3]
	v_add_u32_e32 v7, 0x41, v73
	v_mad_u64_u32 v[3:4], s[0:1], s20, v7, 0
	v_add_co_u32_e64 v63, s[0:1], v9, v0
	v_mov_b32_e32 v6, v2
	v_mov_b32_e32 v2, v4
	v_addc_co_u32_e64 v64, s[0:1], v10, v1, s[0:1]
	v_lshlrev_b64 v[0:1], 4, v[5:6]
	v_mad_u64_u32 v[4:5], s[0:1], s21, v7, v[2:3]
	v_add_u32_e32 v7, 0x4e, v73
	v_mad_u64_u32 v[5:6], s[0:1], s20, v7, 0
	;; [unrolled: 15-line block ×5, first 2 shown]
	v_add_co_u32_e64 v78, s[0:1], v9, v0
	v_mov_b32_e32 v2, v6
	v_addc_co_u32_e64 v79, s[0:1], v10, v1, s[0:1]
	v_lshlrev_b64 v[0:1], 4, v[3:4]
	v_mad_u64_u32 v[2:3], s[0:1], s21, v7, v[2:3]
	v_add_co_u32_e64 v80, s[0:1], v9, v0
	v_mov_b32_e32 v6, v2
	v_addc_co_u32_e64 v81, s[0:1], v10, v1, s[0:1]
	v_lshlrev_b64 v[0:1], 4, v[5:6]
	v_add_co_u32_e64 v82, s[0:1], v9, v0
	v_addc_co_u32_e64 v83, s[0:1], v10, v1, s[0:1]
	global_load_dwordx4 v[0:3], v[57:58], off
	global_load_dwordx4 v[32:35], v[59:60], off
	;; [unrolled: 1-line block ×13, first 2 shown]
.LBB0_12:
	s_or_b64 exec, exec, s[4:5]
	s_waitcnt vmcnt(11)
	v_add_f64 v[65:66], v[32:33], v[0:1]
	v_add_f64 v[67:68], v[34:35], v[2:3]
	s_waitcnt vmcnt(3)
	v_add_f64 v[78:79], v[16:17], v[44:45]
	v_add_f64 v[80:81], v[18:19], v[46:47]
	v_add_f64 v[82:83], v[44:45], -v[16:17]
	v_add_f64 v[84:85], v[46:47], -v[18:19]
	;; [unrolled: 1-line block ×4, first 2 shown]
	v_add_f64 v[74:75], v[40:41], v[65:66]
	v_add_f64 v[76:77], v[42:43], v[67:68]
	;; [unrolled: 1-line block ×6, first 2 shown]
	v_add_f64 v[61:62], v[28:29], -v[24:25]
	v_add_f64 v[63:64], v[30:31], -v[26:27]
	v_add_f64 v[74:75], v[48:49], v[74:75]
	v_add_f64 v[76:77], v[50:51], v[76:77]
	s_waitcnt vmcnt(2)
	v_add_f64 v[86:87], v[12:13], v[48:49]
	v_add_f64 v[88:89], v[14:15], v[50:51]
	v_add_f64 v[48:49], v[48:49], -v[12:13]
	v_add_f64 v[50:51], v[50:51], -v[14:15]
	s_waitcnt vmcnt(0)
	v_add_f64 v[92:93], v[6:7], v[34:35]
	v_add_f64 v[34:35], v[34:35], -v[6:7]
	v_add_f64 v[44:45], v[44:45], v[74:75]
	v_add_f64 v[46:47], v[46:47], v[76:77]
	s_mov_b32 s28, 0x4267c47c
	s_mov_b32 s26, 0x42a4c3d2
	;; [unrolled: 1-line block ×6, first 2 shown]
	v_add_f64 v[36:37], v[36:37], v[44:45]
	v_add_f64 v[38:39], v[38:39], v[46:47]
	s_mov_b32 s29, 0xbfddbe06
	s_mov_b32 s27, 0xbfea55e2
	;; [unrolled: 1-line block ×6, first 2 shown]
	v_add_f64 v[28:29], v[28:29], v[36:37]
	v_add_f64 v[30:31], v[30:31], v[38:39]
	;; [unrolled: 1-line block ×4, first 2 shown]
	v_add_f64 v[40:41], v[40:41], -v[8:9]
	v_add_f64 v[42:43], v[42:43], -v[10:11]
	v_add_f64 v[90:91], v[4:5], v[32:33]
	v_add_f64 v[32:33], v[32:33], -v[4:5]
	v_add_f64 v[24:25], v[24:25], v[28:29]
	v_add_f64 v[26:27], v[26:27], v[30:31]
	v_mul_f64 v[28:29], v[34:35], s[16:17]
	s_mov_b32 s22, 0xe00740e9
	s_mov_b32 s20, 0x1ea71119
	;; [unrolled: 1-line block ×5, first 2 shown]
	v_add_f64 v[20:21], v[20:21], v[24:25]
	v_add_f64 v[22:23], v[22:23], v[26:27]
	v_mul_f64 v[24:25], v[34:35], s[18:19]
	v_mul_f64 v[26:27], v[34:35], s[14:15]
	s_mov_b32 s0, 0x93053d00
	s_mov_b32 s23, 0x3fec55a7
	s_mov_b32 s21, 0x3fe22d96
	s_mov_b32 s9, 0x3fbedb7d
	v_add_f64 v[16:17], v[16:17], v[20:21]
	v_add_f64 v[18:19], v[18:19], v[22:23]
	v_mul_f64 v[20:21], v[34:35], s[28:29]
	v_mul_f64 v[22:23], v[34:35], s[26:27]
	s_mov_b32 s7, 0xbfd6b1d8
	s_mov_b32 s5, 0xbfe7f3cc
	;; [unrolled: 1-line block ×3, first 2 shown]
	v_fma_f64 v[36:37], v[90:91], s[6:7], v[26:27]
	v_add_f64 v[12:13], v[12:13], v[16:17]
	v_add_f64 v[14:15], v[14:15], v[18:19]
	v_mul_f64 v[16:17], v[34:35], s[24:25]
	v_mul_f64 v[18:19], v[32:33], s[28:29]
	v_fma_f64 v[30:31], v[90:91], s[22:23], v[20:21]
	v_fma_f64 v[20:21], v[90:91], s[22:23], -v[20:21]
	v_fma_f64 v[34:35], v[90:91], s[20:21], v[22:23]
	v_fma_f64 v[22:23], v[90:91], s[20:21], -v[22:23]
	v_add_f64 v[8:9], v[8:9], v[12:13]
	v_add_f64 v[10:11], v[10:11], v[14:15]
	v_fma_f64 v[12:13], v[90:91], s[8:9], v[24:25]
	v_fma_f64 v[14:15], v[90:91], s[8:9], -v[24:25]
	v_fma_f64 v[26:27], v[90:91], s[6:7], -v[26:27]
	v_fma_f64 v[38:39], v[90:91], s[4:5], v[28:29]
	v_fma_f64 v[28:29], v[90:91], s[4:5], -v[28:29]
	v_mul_f64 v[46:47], v[32:33], s[14:15]
	v_add_f64 v[4:5], v[4:5], v[8:9]
	v_add_f64 v[24:25], v[6:7], v[10:11]
	v_fma_f64 v[6:7], v[90:91], s[0:1], v[16:17]
	v_mul_f64 v[8:9], v[32:33], s[26:27]
	v_fma_f64 v[10:11], v[90:91], s[0:1], -v[16:17]
	v_mul_f64 v[16:17], v[32:33], s[18:19]
	v_mul_f64 v[90:91], v[32:33], s[16:17]
	;; [unrolled: 1-line block ×3, first 2 shown]
	v_fma_f64 v[98:99], v[92:93], s[6:7], -v[46:47]
	s_mov_b32 s30, 0xaf286bcb
	v_fma_f64 v[44:45], v[92:93], s[22:23], -v[18:19]
	v_fma_f64 v[94:95], v[92:93], s[20:21], -v[8:9]
	v_fma_f64 v[18:19], v[92:93], s[22:23], v[18:19]
	v_fma_f64 v[96:97], v[92:93], s[8:9], -v[16:17]
	v_fma_f64 v[100:101], v[92:93], s[4:5], -v[90:91]
	;; [unrolled: 1-line block ×3, first 2 shown]
	v_fma_f64 v[8:9], v[92:93], s[20:21], v[8:9]
	v_fma_f64 v[16:17], v[92:93], s[8:9], v[16:17]
	;; [unrolled: 1-line block ×5, first 2 shown]
	v_add_f64 v[30:31], v[0:1], v[30:31]
	v_add_f64 v[20:21], v[0:1], v[20:21]
	v_add_f64 v[34:35], v[0:1], v[34:35]
	v_add_f64 v[92:93], v[2:3], v[94:95]
	v_add_f64 v[22:23], v[0:1], v[22:23]
	v_add_f64 v[12:13], v[0:1], v[12:13]
	v_add_f64 v[94:95], v[2:3], v[96:97]
	v_add_f64 v[14:15], v[0:1], v[14:15]
	v_add_f64 v[36:37], v[0:1], v[36:37]
	v_add_f64 v[96:97], v[2:3], v[98:99]
	v_add_f64 v[26:27], v[0:1], v[26:27]
	v_add_f64 v[38:39], v[0:1], v[38:39]
	v_add_f64 v[98:99], v[2:3], v[100:101]
	v_add_f64 v[28:29], v[0:1], v[28:29]
	v_add_f64 v[6:7], v[0:1], v[6:7]
	v_add_f64 v[100:101], v[2:3], v[102:103]
	v_mul_hi_u32 v104, v56, s30
	v_add_f64 v[10:11], v[0:1], v[10:11]
	v_mul_f64 v[0:1], v[42:43], s[26:27]
	v_mul_f64 v[102:103], v[40:41], s[26:27]
	v_sub_u32_e32 v105, v56, v104
	v_lshrrev_b32_e32 v105, 1, v105
	v_add_u32_e32 v106, v105, v104
	v_lshrrev_b32_e32 v106, 4, v106
	v_add_f64 v[44:45], v[2:3], v[44:45]
	v_add_f64 v[18:19], v[2:3], v[18:19]
	v_mul_lo_u32 v116, v106, 19
	v_fma_f64 v[106:107], v[74:75], s[20:21], v[0:1]
	v_fma_f64 v[108:109], v[76:77], s[20:21], -v[102:103]
	v_mul_f64 v[112:113], v[40:41], s[14:15]
	v_fma_f64 v[102:103], v[76:77], s[20:21], v[102:103]
	v_add_f64 v[8:9], v[2:3], v[8:9]
	v_add_f64 v[16:17], v[2:3], v[16:17]
	v_add_f64 v[46:47], v[2:3], v[46:47]
	v_add_f64 v[90:91], v[2:3], v[90:91]
	v_mul_f64 v[104:105], v[42:43], s[14:15]
	v_fma_f64 v[110:111], v[74:75], s[20:21], -v[0:1]
	v_add_f64 v[1:2], v[2:3], v[32:33]
	v_add_f64 v[30:31], v[106:107], v[30:31]
	;; [unrolled: 1-line block ×3, first 2 shown]
	v_fma_f64 v[44:45], v[76:77], s[6:7], -v[112:113]
	v_add_f64 v[18:19], v[102:103], v[18:19]
	v_mul_f64 v[102:103], v[42:43], s[24:25]
	v_mul_f64 v[106:107], v[40:41], s[24:25]
	s_mov_b32 s35, 0x3fe5384d
	s_mov_b32 s34, s16
	v_fma_f64 v[114:115], v[74:75], s[6:7], v[104:105]
	v_sub_u32_e32 v0, v56, v116
	v_add_f64 v[20:21], v[110:111], v[20:21]
	v_mul_f64 v[108:109], v[42:43], s[34:35]
	v_add_f64 v[44:45], v[44:45], v[92:93]
	v_fma_f64 v[92:93], v[74:75], s[6:7], -v[104:105]
	v_fma_f64 v[104:105], v[76:77], s[6:7], v[112:113]
	v_fma_f64 v[110:111], v[74:75], s[0:1], v[102:103]
	v_fma_f64 v[112:113], v[76:77], s[0:1], -v[106:107]
	v_fma_f64 v[102:103], v[74:75], s[0:1], -v[102:103]
	v_fma_f64 v[106:107], v[76:77], s[0:1], v[106:107]
	v_mul_f64 v[116:117], v[40:41], s[34:35]
	s_mov_b32 s37, 0x3fefc445
	s_mov_b32 s36, s18
	;; [unrolled: 1-line block ×4, first 2 shown]
	v_add_f64 v[34:35], v[114:115], v[34:35]
	v_fma_f64 v[114:115], v[74:75], s[4:5], v[108:109]
	v_add_f64 v[22:23], v[92:93], v[22:23]
	v_add_f64 v[8:9], v[104:105], v[8:9]
	;; [unrolled: 1-line block ×5, first 2 shown]
	v_fma_f64 v[94:95], v[76:77], s[4:5], -v[116:117]
	v_fma_f64 v[102:103], v[74:75], s[4:5], -v[108:109]
	v_fma_f64 v[104:105], v[76:77], s[4:5], v[116:117]
	v_mul_f64 v[106:107], v[42:43], s[36:37]
	v_mul_f64 v[42:43], v[42:43], s[30:31]
	;; [unrolled: 1-line block ×4, first 2 shown]
	v_add_f64 v[12:13], v[110:111], v[12:13]
	v_add_f64 v[94:95], v[94:95], v[96:97]
	;; [unrolled: 1-line block ×4, first 2 shown]
	v_fma_f64 v[96:97], v[74:75], s[8:9], v[106:107]
	v_fma_f64 v[102:103], v[74:75], s[8:9], -v[106:107]
	v_fma_f64 v[104:105], v[74:75], s[22:23], v[42:43]
	v_fma_f64 v[106:107], v[76:77], s[8:9], -v[108:109]
	v_fma_f64 v[42:43], v[74:75], s[22:23], -v[42:43]
	v_fma_f64 v[74:75], v[76:77], s[8:9], v[108:109]
	v_mul_f64 v[108:109], v[50:51], s[18:19]
	v_fma_f64 v[110:111], v[76:77], s[22:23], -v[40:41]
	v_mul_f64 v[112:113], v[48:49], s[18:19]
	v_fma_f64 v[40:41], v[76:77], s[22:23], v[40:41]
	v_add_f64 v[38:39], v[96:97], v[38:39]
	v_add_f64 v[76:77], v[106:107], v[98:99]
	;; [unrolled: 1-line block ×4, first 2 shown]
	v_fma_f64 v[90:91], v[86:87], s[8:9], v[108:109]
	v_add_f64 v[98:99], v[110:111], v[100:101]
	v_fma_f64 v[96:97], v[88:89], s[8:9], -v[112:113]
	v_mul_f64 v[100:101], v[50:51], s[24:25]
	v_mul_f64 v[102:103], v[48:49], s[24:25]
	v_add_f64 v[1:2], v[40:41], v[1:2]
	v_fma_f64 v[40:41], v[86:87], s[8:9], -v[108:109]
	s_mov_b32 s41, 0x3fedeba7
	s_mov_b32 s40, s14
	v_add_f64 v[6:7], v[104:105], v[6:7]
	v_add_f64 v[10:11], v[42:43], v[10:11]
	;; [unrolled: 1-line block ×4, first 2 shown]
	v_fma_f64 v[42:43], v[88:89], s[8:9], v[112:113]
	v_fma_f64 v[90:91], v[86:87], s[0:1], v[100:101]
	v_fma_f64 v[96:97], v[88:89], s[0:1], -v[102:103]
	v_mul_f64 v[104:105], v[50:51], s[40:41]
	v_add_f64 v[20:21], v[40:41], v[20:21]
	v_mul_f64 v[40:41], v[48:49], s[40:41]
	v_mul_f64 v[106:107], v[48:49], s[30:31]
	v_add_f64 v[36:37], v[114:115], v[36:37]
	v_add_f64 v[18:19], v[42:43], v[18:19]
	;; [unrolled: 1-line block ×3, first 2 shown]
	v_fma_f64 v[42:43], v[86:87], s[0:1], -v[100:101]
	v_add_f64 v[44:45], v[96:97], v[44:45]
	v_fma_f64 v[90:91], v[88:89], s[0:1], v[102:103]
	v_fma_f64 v[96:97], v[86:87], s[6:7], v[104:105]
	v_mul_f64 v[100:101], v[50:51], s[30:31]
	v_fma_f64 v[102:103], v[88:89], s[6:7], -v[40:41]
	v_fma_f64 v[40:41], v[88:89], s[6:7], v[40:41]
	v_fma_f64 v[104:105], v[86:87], s[6:7], -v[104:105]
	v_add_f64 v[22:23], v[42:43], v[22:23]
	s_mov_b32 s45, 0x3fcea1e5
	v_add_f64 v[8:9], v[90:91], v[8:9]
	v_add_f64 v[12:13], v[96:97], v[12:13]
	v_fma_f64 v[42:43], v[86:87], s[22:23], v[100:101]
	v_fma_f64 v[96:97], v[86:87], s[22:23], -v[100:101]
	v_add_f64 v[16:17], v[40:41], v[16:17]
	v_fma_f64 v[40:41], v[88:89], s[22:23], v[106:107]
	v_mul_f64 v[100:101], v[50:51], s[26:27]
	v_add_f64 v[90:91], v[102:103], v[92:93]
	v_fma_f64 v[92:93], v[88:89], s[22:23], -v[106:107]
	v_mul_f64 v[50:51], v[50:51], s[16:17]
	v_add_f64 v[36:37], v[42:43], v[36:37]
	v_mul_f64 v[42:43], v[48:49], s[26:27]
	v_add_f64 v[26:27], v[96:97], v[26:27]
	v_add_f64 v[40:41], v[40:41], v[46:47]
	v_fma_f64 v[46:47], v[86:87], s[20:21], v[100:101]
	v_mul_f64 v[48:49], v[48:49], s[16:17]
	v_add_f64 v[92:93], v[92:93], v[94:95]
	v_fma_f64 v[94:95], v[86:87], s[20:21], -v[100:101]
	v_fma_f64 v[100:101], v[86:87], s[4:5], v[50:51]
	v_fma_f64 v[96:97], v[88:89], s[20:21], -v[42:43]
	v_fma_f64 v[50:51], v[86:87], s[4:5], -v[50:51]
	v_fma_f64 v[42:43], v[88:89], s[20:21], v[42:43]
	v_add_f64 v[38:39], v[46:47], v[38:39]
	v_mul_f64 v[46:47], v[84:85], s[14:15]
	v_fma_f64 v[86:87], v[88:89], s[4:5], -v[48:49]
	v_fma_f64 v[48:49], v[88:89], s[4:5], v[48:49]
	v_mul_f64 v[88:89], v[82:83], s[14:15]
	v_add_f64 v[76:77], v[96:97], v[76:77]
	v_add_f64 v[28:29], v[94:95], v[28:29]
	v_mul_f64 v[96:97], v[82:83], s[34:35]
	v_add_f64 v[42:43], v[42:43], v[74:75]
	v_fma_f64 v[94:95], v[78:79], s[6:7], v[46:47]
	v_fma_f64 v[46:47], v[78:79], s[6:7], -v[46:47]
	v_add_f64 v[74:75], v[86:87], v[98:99]
	v_mul_f64 v[86:87], v[84:85], s[34:35]
	v_fma_f64 v[98:99], v[80:81], s[6:7], -v[88:89]
	v_add_f64 v[1:2], v[48:49], v[1:2]
	v_fma_f64 v[48:49], v[80:81], s[6:7], v[88:89]
	v_fma_f64 v[88:89], v[80:81], s[4:5], -v[96:97]
	v_add_f64 v[10:11], v[50:51], v[10:11]
	v_add_f64 v[20:21], v[46:47], v[20:21]
	v_mul_f64 v[46:47], v[84:85], s[30:31]
	v_fma_f64 v[50:51], v[78:79], s[4:5], v[86:87]
	v_add_f64 v[30:31], v[94:95], v[30:31]
	v_mul_f64 v[94:95], v[82:83], s[30:31]
	v_add_f64 v[18:19], v[48:49], v[18:19]
	v_mul_f64 v[48:49], v[84:85], s[18:19]
	v_add_f64 v[44:45], v[88:89], v[44:45]
	s_mov_b32 s44, s24
	v_fma_f64 v[88:89], v[78:79], s[22:23], v[46:47]
	v_add_f64 v[14:15], v[104:105], v[14:15]
	v_add_f64 v[6:7], v[100:101], v[6:7]
	;; [unrolled: 1-line block ×4, first 2 shown]
	v_fma_f64 v[50:51], v[78:79], s[4:5], -v[86:87]
	v_fma_f64 v[86:87], v[80:81], s[4:5], v[96:97]
	v_fma_f64 v[96:97], v[80:81], s[22:23], -v[94:95]
	v_fma_f64 v[46:47], v[78:79], s[22:23], -v[46:47]
	v_fma_f64 v[98:99], v[78:79], s[8:9], v[48:49]
	v_mul_f64 v[100:101], v[82:83], s[18:19]
	v_add_f64 v[12:13], v[88:89], v[12:13]
	v_fma_f64 v[48:49], v[78:79], s[8:9], -v[48:49]
	v_mul_f64 v[88:89], v[84:85], s[44:45]
	s_mov_b32 s43, 0x3fea55e2
	s_mov_b32 s42, s26
	v_add_f64 v[22:23], v[50:51], v[22:23]
	v_add_f64 v[8:9], v[86:87], v[8:9]
	;; [unrolled: 1-line block ×4, first 2 shown]
	v_fma_f64 v[46:47], v[80:81], s[8:9], -v[100:101]
	v_fma_f64 v[86:87], v[80:81], s[8:9], v[100:101]
	v_mul_f64 v[90:91], v[82:83], s[44:45]
	v_mul_f64 v[84:85], v[84:85], s[42:43]
	v_add_f64 v[26:27], v[48:49], v[26:27]
	v_mul_f64 v[48:49], v[82:83], s[42:43]
	v_fma_f64 v[82:83], v[78:79], s[0:1], v[88:89]
	v_fma_f64 v[94:95], v[80:81], s[22:23], v[94:95]
	v_add_f64 v[46:47], v[46:47], v[92:93]
	v_add_f64 v[40:41], v[86:87], v[40:41]
	v_fma_f64 v[86:87], v[78:79], s[0:1], -v[88:89]
	v_fma_f64 v[88:89], v[80:81], s[0:1], -v[90:91]
	v_fma_f64 v[92:93], v[78:79], s[20:21], v[84:85]
	v_fma_f64 v[78:79], v[78:79], s[20:21], -v[84:85]
	v_fma_f64 v[84:85], v[80:81], s[0:1], v[90:91]
	;; [unrolled: 2-line block ×3, first 2 shown]
	v_add_f64 v[38:39], v[82:83], v[38:39]
	v_mul_f64 v[80:81], v[71:72], s[16:17]
	v_mul_f64 v[82:83], v[69:70], s[16:17]
	v_add_f64 v[76:77], v[88:89], v[76:77]
	v_add_f64 v[28:29], v[86:87], v[28:29]
	;; [unrolled: 1-line block ×3, first 2 shown]
	v_mul_f64 v[84:85], v[71:72], s[36:37]
	v_mul_f64 v[88:89], v[69:70], s[36:37]
	v_add_f64 v[10:11], v[78:79], v[10:11]
	v_fma_f64 v[86:87], v[67:68], s[4:5], v[80:81]
	v_fma_f64 v[78:79], v[67:68], s[4:5], -v[80:81]
	v_add_f64 v[1:2], v[48:49], v[1:2]
	v_fma_f64 v[48:49], v[65:66], s[4:5], v[82:83]
	v_add_f64 v[74:75], v[90:91], v[74:75]
	v_fma_f64 v[90:91], v[65:66], s[4:5], -v[82:83]
	v_fma_f64 v[82:83], v[65:66], s[8:9], -v[88:89]
	v_fma_f64 v[80:81], v[67:68], s[8:9], v[84:85]
	v_add_f64 v[30:31], v[86:87], v[30:31]
	v_mul_f64 v[86:87], v[71:72], s[26:27]
	v_add_f64 v[20:21], v[78:79], v[20:21]
	v_mul_f64 v[78:79], v[69:70], s[26:27]
	v_add_f64 v[18:19], v[48:49], v[18:19]
	v_fma_f64 v[48:49], v[67:68], s[8:9], -v[84:85]
	v_mul_f64 v[84:85], v[71:72], s[44:45]
	v_add_f64 v[16:17], v[94:95], v[16:17]
	v_add_f64 v[32:33], v[90:91], v[32:33]
	v_add_f64 v[44:45], v[82:83], v[44:45]
	v_fma_f64 v[82:83], v[67:68], s[20:21], v[86:87]
	v_mul_f64 v[90:91], v[69:70], s[44:45]
	v_add_f64 v[36:37], v[98:99], v[36:37]
	v_add_f64 v[22:23], v[48:49], v[22:23]
	v_fma_f64 v[48:49], v[65:66], s[20:21], v[78:79]
	v_add_f64 v[34:35], v[80:81], v[34:35]
	v_fma_f64 v[80:81], v[65:66], s[8:9], v[88:89]
	v_fma_f64 v[88:89], v[65:66], s[20:21], -v[78:79]
	v_fma_f64 v[78:79], v[67:68], s[0:1], v[84:85]
	v_add_f64 v[12:13], v[82:83], v[12:13]
	v_fma_f64 v[82:83], v[67:68], s[0:1], -v[84:85]
	v_mul_f64 v[84:85], v[71:72], s[30:31]
	v_add_f64 v[16:17], v[48:49], v[16:17]
	v_fma_f64 v[48:49], v[65:66], s[0:1], v[90:91]
	v_add_f64 v[8:9], v[80:81], v[8:9]
	v_fma_f64 v[80:81], v[65:66], s[0:1], -v[90:91]
	v_add_f64 v[36:37], v[78:79], v[36:37]
	v_mul_f64 v[71:72], v[71:72], s[14:15]
	v_mul_f64 v[78:79], v[69:70], s[30:31]
	;; [unrolled: 1-line block ×3, first 2 shown]
	v_fma_f64 v[86:87], v[67:68], s[20:21], -v[86:87]
	v_add_f64 v[40:41], v[48:49], v[40:41]
	v_fma_f64 v[48:49], v[67:68], s[22:23], v[84:85]
	v_add_f64 v[46:47], v[80:81], v[46:47]
	v_add_f64 v[26:27], v[82:83], v[26:27]
	v_fma_f64 v[80:81], v[67:68], s[22:23], -v[84:85]
	v_fma_f64 v[82:83], v[67:68], s[6:7], v[71:72]
	v_fma_f64 v[84:85], v[65:66], s[22:23], -v[78:79]
	v_fma_f64 v[67:68], v[67:68], s[6:7], -v[71:72]
	v_fma_f64 v[71:72], v[65:66], s[22:23], v[78:79]
	v_fma_f64 v[78:79], v[65:66], s[6:7], -v[69:70]
	v_add_f64 v[6:7], v[92:93], v[6:7]
	v_fma_f64 v[65:66], v[65:66], s[6:7], v[69:70]
	v_add_f64 v[38:39], v[48:49], v[38:39]
	v_mul_f64 v[48:49], v[63:64], s[24:25]
	v_mul_f64 v[69:70], v[61:62], s[24:25]
	v_add_f64 v[28:29], v[80:81], v[28:29]
	v_add_f64 v[42:43], v[71:72], v[42:43]
	;; [unrolled: 1-line block ×3, first 2 shown]
	v_mul_f64 v[74:75], v[63:64], s[30:31]
	v_add_f64 v[6:7], v[82:83], v[6:7]
	v_mul_f64 v[82:83], v[61:62], s[30:31]
	v_fma_f64 v[78:79], v[59:60], s[0:1], v[48:49]
	v_fma_f64 v[80:81], v[57:58], s[0:1], -v[69:70]
	v_add_f64 v[10:11], v[67:68], v[10:11]
	v_add_f64 v[1:2], v[65:66], v[1:2]
	v_fma_f64 v[48:49], v[59:60], s[0:1], -v[48:49]
	v_fma_f64 v[65:66], v[57:58], s[0:1], v[69:70]
	v_fma_f64 v[67:68], v[59:60], s[22:23], v[74:75]
	v_fma_f64 v[69:70], v[57:58], s[22:23], -v[82:83]
	v_add_f64 v[30:31], v[78:79], v[30:31]
	v_add_f64 v[32:33], v[80:81], v[32:33]
	v_mul_f64 v[78:79], v[63:64], s[16:17]
	v_mul_f64 v[80:81], v[61:62], s[16:17]
	v_add_f64 v[20:21], v[48:49], v[20:21]
	v_add_f64 v[48:49], v[65:66], v[18:19]
	;; [unrolled: 1-line block ×3, first 2 shown]
	v_fma_f64 v[34:35], v[59:60], s[22:23], -v[74:75]
	v_fma_f64 v[65:66], v[57:58], s[22:23], v[82:83]
	v_add_f64 v[50:51], v[88:89], v[50:51]
	v_add_f64 v[14:15], v[86:87], v[14:15]
	;; [unrolled: 1-line block ×3, first 2 shown]
	v_fma_f64 v[67:68], v[59:60], s[4:5], v[78:79]
	v_fma_f64 v[69:70], v[57:58], s[4:5], -v[80:81]
	v_mul_f64 v[74:75], v[63:64], s[42:43]
	v_mul_f64 v[82:83], v[61:62], s[42:43]
	v_fma_f64 v[78:79], v[59:60], s[4:5], -v[78:79]
	v_add_f64 v[22:23], v[34:35], v[22:23]
	v_add_f64 v[34:35], v[65:66], v[8:9]
	v_fma_f64 v[8:9], v[57:58], s[4:5], v[80:81]
	v_add_f64 v[12:13], v[67:68], v[12:13]
	v_add_f64 v[50:51], v[69:70], v[50:51]
	v_fma_f64 v[65:66], v[59:60], s[20:21], v[74:75]
	v_fma_f64 v[67:68], v[57:58], s[20:21], -v[82:83]
	v_add_f64 v[14:15], v[78:79], v[14:15]
	v_mul_f64 v[69:70], v[63:64], s[14:15]
	v_mul_f64 v[78:79], v[61:62], s[14:15]
	v_add_f64 v[80:81], v[8:9], v[16:17]
	v_fma_f64 v[16:17], v[57:58], s[20:21], v[82:83]
	v_mul_f64 v[63:64], v[63:64], s[36:37]
	v_fma_f64 v[8:9], v[59:60], s[20:21], -v[74:75]
	v_add_f64 v[76:77], v[84:85], v[76:77]
	v_add_f64 v[36:37], v[65:66], v[36:37]
	;; [unrolled: 1-line block ×3, first 2 shown]
	v_fma_f64 v[65:66], v[59:60], s[6:7], v[69:70]
	v_fma_f64 v[67:68], v[57:58], s[6:7], -v[78:79]
	v_mul_f64 v[61:62], v[61:62], s[36:37]
	v_add_f64 v[40:41], v[16:17], v[40:41]
	v_fma_f64 v[16:17], v[59:60], s[6:7], -v[69:70]
	v_fma_f64 v[69:70], v[59:60], s[8:9], v[63:64]
	v_fma_f64 v[59:60], v[59:60], s[8:9], -v[63:64]
	v_add_f64 v[8:9], v[8:9], v[26:27]
	v_fma_f64 v[26:27], v[57:58], s[6:7], v[78:79]
	v_add_f64 v[38:39], v[65:66], v[38:39]
	v_add_f64 v[65:66], v[67:68], v[76:77]
	v_fma_f64 v[67:68], v[57:58], s[8:9], -v[61:62]
	v_fma_f64 v[56:57], v[57:58], s[8:9], v[61:62]
	v_add_f64 v[6:7], v[69:70], v[6:7]
	v_add_f64 v[10:11], v[59:60], v[10:11]
	;; [unrolled: 1-line block ×3, first 2 shown]
	v_mul_u32_u24_e32 v0, 0xa9, v0
	v_lshl_add_u32 v0, v0, 3, 0
	s_movk_i32 s33, 0x68
	v_mad_u32_u24 v58, v73, s33, v0
	s_movk_i32 s33, 0xffa0
	v_add_f64 v[42:43], v[26:27], v[42:43]
	v_lshl_add_u32 v26, v73, 3, v0
	v_mad_i32_i24 v27, v73, s33, v58
	s_load_dwordx2 s[38:39], s[38:39], 0x0
	v_add_f64 v[56:57], v[56:57], v[1:2]
	ds_write2_b64 v58, v[4:5], v[30:31] offset1:1
	ds_write2_b64 v58, v[18:19], v[12:13] offset0:2 offset1:3
	ds_write2_b64 v58, v[36:37], v[38:39] offset0:4 offset1:5
	;; [unrolled: 1-line block ×5, first 2 shown]
	ds_write_b64 v58, v[20:21] offset:96
	s_waitcnt lgkmcnt(0)
	s_barrier
	ds_read_b64 v[28:29], v26
	ds_read2_b64 v[0:3], v27 offset0:13 offset1:26
	ds_read2_b64 v[8:11], v27 offset0:39 offset1:52
	;; [unrolled: 1-line block ×6, first 2 shown]
	v_add_f64 v[61:62], v[67:68], v[71:72]
	s_waitcnt lgkmcnt(0)
	s_barrier
	ds_write2_b64 v58, v[24:25], v[32:33] offset1:1
	ds_write2_b64 v58, v[44:45], v[50:51] offset0:2 offset1:3
	ds_write2_b64 v58, v[46:47], v[65:66] offset0:4 offset1:5
	;; [unrolled: 1-line block ×5, first 2 shown]
	ds_write_b64 v58, v[48:49] offset:96
	s_waitcnt lgkmcnt(0)
	s_barrier
	s_and_saveexec_b64 s[46:47], vcc
	s_cbranch_execz .LBB0_14
; %bb.13:
	v_mul_u32_u24_e32 v24, 12, v73
	v_lshlrev_b32_e32 v24, 4, v24
	global_load_dwordx4 v[30:33], v24, s[12:13] offset:80
	global_load_dwordx4 v[36:39], v24, s[12:13] offset:96
	;; [unrolled: 1-line block ×10, first 2 shown]
	global_load_dwordx4 v[78:81], v24, s[12:13]
	global_load_dwordx4 v[98:101], v24, s[12:13] offset:176
	ds_read2_b64 v[48:51], v27 offset0:65 offset1:78
	ds_read2_b64 v[102:105], v27 offset0:91 offset1:104
	;; [unrolled: 1-line block ×6, first 2 shown]
	ds_read_b64 v[34:35], v26
	s_waitcnt vmcnt(11)
	v_mul_f64 v[24:25], v[18:19], v[30:31]
	s_waitcnt vmcnt(10)
	v_mul_f64 v[26:27], v[20:21], v[36:37]
	v_mul_f64 v[18:19], v[18:19], v[32:33]
	s_waitcnt vmcnt(9)
	v_mul_f64 v[44:45], v[16:17], v[40:41]
	;; [unrolled: 3-line block ×3, first 2 shown]
	v_mul_f64 v[16:17], v[16:17], v[42:43]
	v_mul_f64 v[12:13], v[12:13], v[72:73]
	s_waitcnt vmcnt(3)
	v_mul_f64 v[130:131], v[2:3], v[90:91]
	s_waitcnt vmcnt(2)
	;; [unrolled: 2-line block ×4, first 2 shown]
	v_mul_f64 v[137:138], v[6:7], v[98:99]
	v_mul_f64 v[0:1], v[0:1], v[80:81]
	;; [unrolled: 1-line block ×3, first 2 shown]
	s_waitcnt lgkmcnt(6)
	v_fma_f64 v[56:57], v[50:51], v[30:31], -v[18:19]
	v_fma_f64 v[60:61], v[48:49], v[42:43], v[44:45]
	s_waitcnt lgkmcnt(5)
	v_fma_f64 v[42:43], v[102:103], v[38:39], v[26:27]
	s_waitcnt lgkmcnt(3)
	;; [unrolled: 2-line block ×4, first 2 shown]
	v_fma_f64 v[30:31], v[120:121], v[100:101], v[137:138]
	v_mul_f64 v[58:59], v[10:11], v[66:67]
	v_mul_f64 v[126:127], v[8:9], v[74:75]
	;; [unrolled: 1-line block ×5, first 2 shown]
	v_fma_f64 v[46:47], v[50:51], v[32:33], v[24:25]
	v_fma_f64 v[50:51], v[102:103], v[36:37], -v[20:21]
	v_fma_f64 v[44:45], v[110:111], v[70:71], -v[12:13]
	v_fma_f64 v[70:71], v[116:117], v[92:93], v[130:131]
	v_fma_f64 v[36:37], v[118:119], v[96:97], v[133:134]
	v_fma_f64 v[78:79], v[114:115], v[78:79], -v[0:1]
	v_fma_f64 v[32:33], v[120:121], v[98:99], -v[6:7]
	v_add_f64 v[130:131], v[72:73], -v[30:31]
	v_mul_f64 v[10:11], v[10:11], v[68:69]
	v_mul_f64 v[8:9], v[8:9], v[76:77]
	;; [unrolled: 1-line block ×3, first 2 shown]
	v_fma_f64 v[62:63], v[48:49], v[40:41], -v[16:17]
	v_fma_f64 v[64:65], v[108:109], v[68:69], v[58:59]
	v_fma_f64 v[68:69], v[106:107], v[76:77], v[126:127]
	;; [unrolled: 1-line block ×3, first 2 shown]
	v_fma_f64 v[76:77], v[116:117], v[90:91], -v[2:3]
	v_fma_f64 v[48:49], v[118:119], v[94:95], -v[4:5]
	v_add_f64 v[128:129], v[70:71], -v[36:37]
	v_add_f64 v[114:115], v[78:79], -v[32:33]
	v_add_f64 v[110:111], v[78:79], v[32:33]
	v_mul_f64 v[0:1], v[130:131], s[24:25]
	v_mul_f64 v[122:123], v[22:23], v[82:83]
	v_fma_f64 v[66:67], v[108:109], v[66:67], -v[10:11]
	v_fma_f64 v[74:75], v[106:107], v[74:75], -v[8:9]
	;; [unrolled: 1-line block ×3, first 2 shown]
	v_add_f64 v[100:101], v[76:77], v[48:49]
	v_add_f64 v[108:109], v[76:77], -v[48:49]
	v_add_f64 v[102:103], v[72:73], v[30:31]
	v_add_f64 v[126:127], v[68:69], -v[40:41]
	v_mul_f64 v[2:3], v[114:115], s[24:25]
	v_mul_f64 v[4:5], v[128:129], s[30:31]
	v_fma_f64 v[143:144], v[110:111], s[0:1], v[0:1]
	v_mul_f64 v[22:23], v[22:23], v[84:85]
	v_fma_f64 v[80:81], v[104:105], v[84:85], v[122:123]
	v_add_f64 v[120:121], v[64:65], -v[38:39]
	v_add_f64 v[88:89], v[74:75], v[58:59]
	v_add_f64 v[96:97], v[74:75], -v[58:59]
	v_add_f64 v[98:99], v[70:71], v[36:37]
	v_mul_f64 v[6:7], v[108:109], s[30:31]
	v_mul_f64 v[8:9], v[126:127], s[16:17]
	v_fma_f64 v[145:146], v[102:103], s[0:1], -v[2:3]
	v_fma_f64 v[147:148], v[100:101], s[22:23], v[4:5]
	v_fma_f64 v[0:1], v[110:111], s[0:1], -v[0:1]
	v_fma_f64 v[2:3], v[102:103], s[0:1], v[2:3]
	s_waitcnt lgkmcnt(0)
	v_add_f64 v[143:144], v[34:35], v[143:144]
	v_fma_f64 v[82:83], v[104:105], v[82:83], -v[22:23]
	v_add_f64 v[84:85], v[66:67], v[44:45]
	v_add_f64 v[94:95], v[66:67], -v[44:45]
	v_add_f64 v[90:91], v[68:69], v[40:41]
	v_add_f64 v[124:125], v[60:61], -v[80:81]
	v_mul_f64 v[10:11], v[96:97], s[16:17]
	v_mul_f64 v[12:13], v[120:121], s[42:43]
	v_fma_f64 v[149:150], v[98:99], s[22:23], -v[6:7]
	v_fma_f64 v[151:152], v[88:89], s[4:5], v[8:9]
	v_fma_f64 v[4:5], v[100:101], s[22:23], -v[4:5]
	v_fma_f64 v[6:7], v[98:99], s[22:23], v[6:7]
	v_add_f64 v[0:1], v[34:35], v[0:1]
	v_add_f64 v[2:3], v[28:29], v[2:3]
	;; [unrolled: 1-line block ×5, first 2 shown]
	v_add_f64 v[112:113], v[62:63], -v[82:83]
	v_add_f64 v[118:119], v[46:47], -v[42:43]
	v_mul_f64 v[14:15], v[94:95], s[42:43]
	v_mul_f64 v[16:17], v[124:125], s[14:15]
	;; [unrolled: 1-line block ×3, first 2 shown]
	v_fma_f64 v[153:154], v[90:91], s[4:5], -v[10:11]
	v_fma_f64 v[155:156], v[84:85], s[20:21], v[12:13]
	v_fma_f64 v[8:9], v[88:89], s[4:5], -v[8:9]
	v_fma_f64 v[10:11], v[90:91], s[4:5], v[10:11]
	v_add_f64 v[0:1], v[4:5], v[0:1]
	v_add_f64 v[2:3], v[6:7], v[2:3]
	;; [unrolled: 1-line block ×5, first 2 shown]
	v_mul_f64 v[18:19], v[112:113], s[14:15]
	v_mul_f64 v[20:21], v[118:119], s[36:37]
	;; [unrolled: 1-line block ×4, first 2 shown]
	v_fma_f64 v[157:158], v[86:87], s[20:21], -v[14:15]
	v_fma_f64 v[159:160], v[92:93], s[6:7], v[16:17]
	v_add_f64 v[145:146], v[28:29], v[145:146]
	v_fma_f64 v[6:7], v[84:85], s[20:21], -v[12:13]
	v_fma_f64 v[12:13], v[86:87], s[20:21], v[14:15]
	v_fma_f64 v[14:15], v[92:93], s[6:7], -v[16:17]
	v_fma_f64 v[16:17], v[110:111], s[4:5], v[24:25]
	v_add_f64 v[0:1], v[8:9], v[0:1]
	v_add_f64 v[2:3], v[10:11], v[2:3]
	;; [unrolled: 1-line block ×3, first 2 shown]
	v_add_f64 v[122:123], v[56:57], -v[50:51]
	v_mul_f64 v[133:134], v[126:127], s[26:27]
	v_mul_f64 v[139:140], v[108:109], s[36:37]
	v_fma_f64 v[161:162], v[104:105], s[6:7], -v[18:19]
	v_fma_f64 v[147:148], v[106:107], s[8:9], v[20:21]
	v_add_f64 v[145:146], v[149:150], v[145:146]
	v_fma_f64 v[8:9], v[104:105], s[6:7], v[18:19]
	v_fma_f64 v[10:11], v[100:101], s[8:9], v[26:27]
	v_fma_f64 v[18:19], v[102:103], s[4:5], -v[137:138]
	v_add_f64 v[16:17], v[34:35], v[16:17]
	v_add_f64 v[0:1], v[6:7], v[0:1]
	v_add_f64 v[2:3], v[12:13], v[2:3]
	v_add_f64 v[4:5], v[159:160], v[4:5]
	v_add_f64 v[116:117], v[46:47], v[42:43]
	v_mul_f64 v[22:23], v[122:123], s[36:37]
	v_mul_f64 v[135:136], v[120:121], s[44:45]
	;; [unrolled: 1-line block ×3, first 2 shown]
	v_add_f64 v[143:144], v[153:154], v[145:146]
	v_fma_f64 v[6:7], v[88:89], s[20:21], v[133:134]
	v_fma_f64 v[12:13], v[98:99], s[8:9], -v[139:140]
	v_add_f64 v[18:19], v[28:29], v[18:19]
	v_add_f64 v[10:11], v[10:11], v[16:17]
	v_add_f64 v[14:15], v[14:15], v[0:1]
	v_add_f64 v[8:9], v[8:9], v[2:3]
	v_add_f64 v[2:3], v[147:148], v[4:5]
	v_fma_f64 v[4:5], v[106:107], s[8:9], -v[20:21]
	v_fma_f64 v[163:164], v[116:117], s[8:9], -v[22:23]
	v_add_f64 v[143:144], v[157:158], v[143:144]
	v_fma_f64 v[20:21], v[116:117], s[8:9], v[22:23]
	v_add_f64 v[12:13], v[12:13], v[18:19]
	v_fma_f64 v[18:19], v[90:91], s[20:21], -v[141:142]
	v_add_f64 v[10:11], v[6:7], v[10:11]
	v_fma_f64 v[22:23], v[84:85], s[0:1], v[135:136]
	v_add_f64 v[6:7], v[4:5], v[14:15]
	v_mul_f64 v[14:15], v[124:125], s[30:31]
	v_add_f64 v[16:17], v[161:162], v[143:144]
	v_add_f64 v[4:5], v[20:21], v[8:9]
	v_fma_f64 v[26:27], v[100:101], s[8:9], -v[26:27]
	v_add_f64 v[8:9], v[18:19], v[12:13]
	v_fma_f64 v[12:13], v[110:111], s[4:5], -v[24:25]
	v_add_f64 v[10:11], v[22:23], v[10:11]
	v_fma_f64 v[22:23], v[102:103], s[4:5], v[137:138]
	v_fma_f64 v[24:25], v[92:93], s[22:23], v[14:15]
	v_mul_f64 v[137:138], v[118:119], s[14:15]
	v_add_f64 v[0:1], v[163:164], v[16:17]
	v_mul_f64 v[16:17], v[94:95], s[44:45]
	v_fma_f64 v[139:140], v[98:99], s[8:9], v[139:140]
	v_add_f64 v[12:13], v[34:35], v[12:13]
	v_mul_f64 v[143:144], v[130:131], s[14:15]
	v_add_f64 v[22:23], v[28:29], v[22:23]
	v_add_f64 v[10:11], v[24:25], v[10:11]
	v_fma_f64 v[24:25], v[106:107], s[6:7], v[137:138]
	v_mul_f64 v[20:21], v[112:113], s[30:31]
	v_fma_f64 v[18:19], v[86:87], s[0:1], -v[16:17]
	v_fma_f64 v[16:17], v[86:87], s[0:1], v[16:17]
	v_add_f64 v[12:13], v[26:27], v[12:13]
	v_fma_f64 v[26:27], v[88:89], s[20:21], -v[133:134]
	v_add_f64 v[22:23], v[139:140], v[22:23]
	v_fma_f64 v[133:134], v[90:91], s[20:21], v[141:142]
	v_add_f64 v[10:11], v[24:25], v[10:11]
	v_fma_f64 v[24:25], v[110:111], s[6:7], v[143:144]
	v_mul_f64 v[139:140], v[128:129], s[34:35]
	v_add_f64 v[8:9], v[18:19], v[8:9]
	v_fma_f64 v[18:19], v[104:105], s[22:23], -v[20:21]
	v_add_f64 v[12:13], v[26:27], v[12:13]
	v_fma_f64 v[26:27], v[84:85], s[0:1], -v[135:136]
	v_mul_f64 v[135:136], v[114:115], s[14:15]
	v_add_f64 v[22:23], v[133:134], v[22:23]
	v_add_f64 v[24:25], v[34:35], v[24:25]
	v_fma_f64 v[133:134], v[100:101], s[4:5], v[139:140]
	v_mul_f64 v[145:146], v[126:127], s[30:31]
	v_add_f64 v[8:9], v[18:19], v[8:9]
	v_mul_f64 v[18:19], v[122:123], s[14:15]
	v_add_f64 v[12:13], v[26:27], v[12:13]
	v_fma_f64 v[26:27], v[102:103], s[6:7], -v[135:136]
	v_mul_f64 v[147:148], v[108:109], s[34:35]
	v_fma_f64 v[14:15], v[92:93], s[22:23], -v[14:15]
	v_add_f64 v[16:17], v[16:17], v[22:23]
	v_fma_f64 v[20:21], v[104:105], s[22:23], v[20:21]
	v_add_f64 v[22:23], v[133:134], v[24:25]
	v_fma_f64 v[24:25], v[88:89], s[22:23], v[145:146]
	v_mul_f64 v[133:134], v[120:121], s[18:19]
	v_fma_f64 v[141:142], v[116:117], s[6:7], -v[18:19]
	v_add_f64 v[26:27], v[28:29], v[26:27]
	v_fma_f64 v[149:150], v[98:99], s[4:5], -v[147:148]
	v_mul_f64 v[151:152], v[96:97], s[30:31]
	v_add_f64 v[12:13], v[14:15], v[12:13]
	v_add_f64 v[16:17], v[20:21], v[16:17]
	v_fma_f64 v[14:15], v[106:107], s[6:7], -v[137:138]
	v_fma_f64 v[18:19], v[116:117], s[6:7], v[18:19]
	v_add_f64 v[20:21], v[24:25], v[22:23]
	v_fma_f64 v[22:23], v[84:85], s[8:9], v[133:134]
	v_add_f64 v[24:25], v[149:150], v[26:27]
	v_fma_f64 v[26:27], v[90:91], s[22:23], -v[151:152]
	v_add_f64 v[8:9], v[141:142], v[8:9]
	v_mul_f64 v[137:138], v[94:95], s[18:19]
	v_add_f64 v[14:15], v[14:15], v[12:13]
	v_add_f64 v[12:13], v[18:19], v[16:17]
	v_fma_f64 v[16:17], v[110:111], s[6:7], -v[143:144]
	v_mul_f64 v[141:142], v[124:125], s[44:45]
	v_add_f64 v[18:19], v[22:23], v[20:21]
	v_fma_f64 v[22:23], v[102:103], s[6:7], v[135:136]
	v_add_f64 v[20:21], v[26:27], v[24:25]
	v_fma_f64 v[24:25], v[86:87], s[8:9], -v[137:138]
	v_mul_f64 v[26:27], v[112:113], s[44:45]
	v_fma_f64 v[135:136], v[100:101], s[4:5], -v[139:140]
	v_add_f64 v[16:17], v[34:35], v[16:17]
	v_fma_f64 v[139:140], v[92:93], s[0:1], v[141:142]
	v_mul_f64 v[143:144], v[118:119], s[42:43]
	v_fma_f64 v[147:148], v[98:99], s[4:5], v[147:148]
	v_add_f64 v[22:23], v[28:29], v[22:23]
	v_add_f64 v[20:21], v[24:25], v[20:21]
	v_fma_f64 v[24:25], v[104:105], s[0:1], -v[26:27]
	v_mul_f64 v[149:150], v[122:123], s[42:43]
	v_add_f64 v[16:17], v[135:136], v[16:17]
	v_fma_f64 v[135:136], v[88:89], s[22:23], -v[145:146]
	v_add_f64 v[18:19], v[139:140], v[18:19]
	v_fma_f64 v[139:140], v[106:107], s[20:21], v[143:144]
	v_add_f64 v[22:23], v[147:148], v[22:23]
	v_fma_f64 v[145:146], v[90:91], s[22:23], v[151:152]
	v_add_f64 v[20:21], v[24:25], v[20:21]
	v_fma_f64 v[24:25], v[116:117], s[20:21], -v[149:150]
	v_mul_f64 v[147:148], v[130:131], s[18:19]
	v_add_f64 v[135:136], v[135:136], v[16:17]
	v_fma_f64 v[133:134], v[84:85], s[8:9], -v[133:134]
	v_add_f64 v[18:19], v[139:140], v[18:19]
	v_mul_f64 v[139:140], v[114:115], s[18:19]
	v_add_f64 v[22:23], v[145:146], v[22:23]
	v_fma_f64 v[137:138], v[86:87], s[8:9], v[137:138]
	v_add_f64 v[16:17], v[24:25], v[20:21]
	v_fma_f64 v[20:21], v[110:111], s[8:9], v[147:148]
	v_mul_f64 v[24:25], v[128:129], s[24:25]
	v_add_f64 v[133:134], v[133:134], v[135:136]
	v_fma_f64 v[135:136], v[92:93], s[0:1], -v[141:142]
	v_fma_f64 v[141:142], v[102:103], s[8:9], -v[139:140]
	v_mul_f64 v[145:146], v[108:109], s[24:25]
	v_add_f64 v[22:23], v[137:138], v[22:23]
	v_fma_f64 v[26:27], v[104:105], s[0:1], v[26:27]
	v_add_f64 v[20:21], v[34:35], v[20:21]
	v_fma_f64 v[137:138], v[100:101], s[0:1], v[24:25]
	v_mul_f64 v[151:152], v[126:127], s[40:41]
	v_add_f64 v[133:134], v[135:136], v[133:134]
	v_add_f64 v[135:136], v[28:29], v[141:142]
	v_fma_f64 v[141:142], v[98:99], s[0:1], -v[145:146]
	v_mul_f64 v[153:154], v[96:97], s[40:41]
	v_add_f64 v[22:23], v[26:27], v[22:23]
	v_fma_f64 v[26:27], v[106:107], s[20:21], -v[143:144]
	v_add_f64 v[20:21], v[137:138], v[20:21]
	v_fma_f64 v[137:138], v[88:89], s[6:7], v[151:152]
	v_mul_f64 v[143:144], v[120:121], s[30:31]
	v_mul_f64 v[155:156], v[94:95], s[30:31]
	v_add_f64 v[135:136], v[141:142], v[135:136]
	v_fma_f64 v[141:142], v[90:91], s[6:7], -v[153:154]
	v_fma_f64 v[139:140], v[102:103], s[8:9], v[139:140]
	v_add_f64 v[26:27], v[26:27], v[133:134]
	v_fma_f64 v[133:134], v[110:111], s[8:9], -v[147:148]
	v_add_f64 v[20:21], v[137:138], v[20:21]
	v_fma_f64 v[137:138], v[84:85], s[22:23], v[143:144]
	v_mul_f64 v[147:148], v[124:125], s[26:27]
	v_fma_f64 v[24:25], v[100:101], s[0:1], -v[24:25]
	v_add_f64 v[135:136], v[141:142], v[135:136]
	v_fma_f64 v[141:142], v[86:87], s[22:23], -v[155:156]
	v_fma_f64 v[145:146], v[98:99], s[0:1], v[145:146]
	v_add_f64 v[133:134], v[34:35], v[133:134]
	v_add_f64 v[139:140], v[28:29], v[139:140]
	v_fma_f64 v[149:150], v[116:117], s[20:21], v[149:150]
	v_add_f64 v[20:21], v[137:138], v[20:21]
	v_fma_f64 v[137:138], v[92:93], s[20:21], v[147:148]
	v_mul_f64 v[159:160], v[118:119], s[16:17]
	v_add_f64 v[135:136], v[141:142], v[135:136]
	v_fma_f64 v[141:142], v[88:89], s[6:7], -v[151:152]
	v_add_f64 v[133:134], v[24:25], v[133:134]
	v_add_f64 v[139:140], v[145:146], v[139:140]
	v_fma_f64 v[145:146], v[90:91], s[6:7], v[153:154]
	v_mul_f64 v[157:158], v[112:113], s[26:27]
	v_add_f64 v[20:21], v[137:138], v[20:21]
	v_fma_f64 v[137:138], v[106:107], s[4:5], v[159:160]
	v_add_f64 v[24:25], v[149:150], v[22:23]
	v_mul_f64 v[149:150], v[130:131], s[26:27]
	v_add_f64 v[133:134], v[141:142], v[133:134]
	v_fma_f64 v[141:142], v[84:85], s[22:23], -v[143:144]
	v_add_f64 v[139:140], v[145:146], v[139:140]
	v_fma_f64 v[143:144], v[86:87], s[22:23], v[155:156]
	v_fma_f64 v[151:152], v[104:105], s[20:21], -v[157:158]
	v_add_f64 v[22:23], v[137:138], v[20:21]
	v_mul_f64 v[20:21], v[122:123], s[16:17]
	v_fma_f64 v[137:138], v[110:111], s[20:21], v[149:150]
	v_mul_f64 v[145:146], v[128:129], s[14:15]
	v_add_f64 v[133:134], v[141:142], v[133:134]
	v_mul_f64 v[141:142], v[114:115], s[26:27]
	v_fma_f64 v[147:148], v[92:93], s[20:21], -v[147:148]
	v_add_f64 v[139:140], v[143:144], v[139:140]
	v_fma_f64 v[143:144], v[104:105], s[20:21], v[157:158]
	v_add_f64 v[135:136], v[151:152], v[135:136]
	v_fma_f64 v[151:152], v[116:117], s[4:5], -v[20:21]
	v_add_f64 v[137:138], v[34:35], v[137:138]
	v_fma_f64 v[153:154], v[100:101], s[6:7], v[145:146]
	v_mul_f64 v[155:156], v[126:127], s[24:25]
	v_fma_f64 v[157:158], v[102:103], s[20:21], -v[141:142]
	v_mul_f64 v[161:162], v[108:109], s[14:15]
	v_add_f64 v[133:134], v[147:148], v[133:134]
	v_add_f64 v[139:140], v[143:144], v[139:140]
	v_fma_f64 v[143:144], v[106:107], s[4:5], -v[159:160]
	v_fma_f64 v[147:148], v[116:117], s[4:5], v[20:21]
	v_add_f64 v[137:138], v[153:154], v[137:138]
	v_fma_f64 v[153:154], v[88:89], s[0:1], v[155:156]
	v_add_f64 v[157:158], v[28:29], v[157:158]
	v_fma_f64 v[159:160], v[98:99], s[6:7], -v[161:162]
	v_add_f64 v[20:21], v[151:152], v[135:136]
	v_mul_f64 v[151:152], v[96:97], s[24:25]
	v_add_f64 v[135:136], v[143:144], v[133:134]
	v_add_f64 v[133:134], v[147:148], v[139:140]
	v_fma_f64 v[139:140], v[110:111], s[20:21], -v[149:150]
	v_mul_f64 v[143:144], v[120:121], s[34:35]
	v_add_f64 v[137:138], v[153:154], v[137:138]
	v_add_f64 v[147:148], v[159:160], v[157:158]
	v_fma_f64 v[141:142], v[102:103], s[20:21], v[141:142]
	v_fma_f64 v[149:150], v[90:91], s[0:1], -v[151:152]
	v_mul_f64 v[153:154], v[94:95], s[34:35]
	v_fma_f64 v[145:146], v[100:101], s[6:7], -v[145:146]
	v_add_f64 v[139:140], v[34:35], v[139:140]
	v_fma_f64 v[157:158], v[84:85], s[4:5], v[143:144]
	v_mul_f64 v[159:160], v[124:125], s[36:37]
	v_fma_f64 v[161:162], v[98:99], s[6:7], v[161:162]
	v_add_f64 v[141:142], v[28:29], v[141:142]
	v_add_f64 v[147:148], v[149:150], v[147:148]
	v_fma_f64 v[149:150], v[86:87], s[4:5], -v[153:154]
	v_mul_f64 v[163:164], v[112:113], s[36:37]
	v_add_f64 v[139:140], v[145:146], v[139:140]
	v_fma_f64 v[145:146], v[88:89], s[0:1], -v[155:156]
	v_add_f64 v[137:138], v[157:158], v[137:138]
	v_fma_f64 v[155:156], v[92:93], s[8:9], v[159:160]
	v_add_f64 v[141:142], v[161:162], v[141:142]
	v_fma_f64 v[151:152], v[90:91], s[0:1], v[151:152]
	v_add_f64 v[147:148], v[149:150], v[147:148]
	v_fma_f64 v[149:150], v[104:105], s[8:9], -v[163:164]
	v_mul_f64 v[157:158], v[118:119], s[30:31]
	v_add_f64 v[139:140], v[145:146], v[139:140]
	v_fma_f64 v[143:144], v[84:85], s[4:5], -v[143:144]
	v_add_f64 v[137:138], v[155:156], v[137:138]
	v_fma_f64 v[155:156], v[92:93], s[8:9], -v[159:160]
	v_add_f64 v[141:142], v[151:152], v[141:142]
	v_mul_f64 v[151:152], v[122:123], s[30:31]
	v_add_f64 v[147:148], v[149:150], v[147:148]
	v_fma_f64 v[149:150], v[106:107], s[22:23], v[157:158]
	v_mul_f64 v[130:131], v[130:131], s[28:29]
	v_add_f64 v[139:140], v[143:144], v[139:140]
	v_fma_f64 v[145:146], v[86:87], s[4:5], v[153:154]
	v_mul_f64 v[153:154], v[128:129], s[26:27]
	v_add_f64 v[78:79], v[34:35], v[78:79]
	v_mul_f64 v[159:160], v[126:127], s[18:19]
	v_mul_f64 v[120:121], v[120:121], s[14:15]
	v_add_f64 v[128:129], v[149:150], v[137:138]
	v_fma_f64 v[137:138], v[116:117], s[22:23], -v[151:152]
	v_add_f64 v[139:140], v[155:156], v[139:140]
	v_add_f64 v[155:156], v[28:29], v[72:73]
	v_fma_f64 v[143:144], v[110:111], s[22:23], v[130:131]
	v_add_f64 v[141:142], v[145:146], v[141:142]
	v_fma_f64 v[145:146], v[104:105], s[8:9], v[163:164]
	v_fma_f64 v[149:150], v[100:101], s[20:21], v[153:154]
	v_add_f64 v[76:77], v[76:77], v[78:79]
	v_add_f64 v[126:127], v[137:138], v[147:148]
	v_fma_f64 v[78:79], v[116:117], s[22:23], v[151:152]
	v_add_f64 v[137:138], v[70:71], v[155:156]
	v_add_f64 v[143:144], v[34:35], v[143:144]
	v_mul_f64 v[124:125], v[124:125], s[16:17]
	v_add_f64 v[141:142], v[145:146], v[141:142]
	v_fma_f64 v[145:146], v[106:107], s[22:23], -v[157:158]
	v_add_f64 v[74:75], v[74:75], v[76:77]
	v_add_f64 v[68:69], v[68:69], v[137:138]
	;; [unrolled: 1-line block ×3, first 2 shown]
	v_fma_f64 v[149:150], v[88:89], s[8:9], v[159:160]
	v_add_f64 v[70:71], v[78:79], v[141:142]
	v_fma_f64 v[78:79], v[84:85], s[6:7], v[120:121]
	v_add_f64 v[66:67], v[66:67], v[74:75]
	v_mul_f64 v[74:75], v[114:115], s[28:29]
	v_add_f64 v[72:73], v[145:146], v[139:140]
	v_add_f64 v[64:65], v[64:65], v[68:69]
	v_fma_f64 v[68:69], v[110:111], s[22:23], -v[130:131]
	v_add_f64 v[76:77], v[149:150], v[143:144]
	v_mul_f64 v[110:111], v[118:119], s[24:25]
	v_mul_lo_u32 v139, s39, v54
	v_add_f64 v[62:63], v[62:63], v[66:67]
	v_mul_f64 v[66:67], v[108:109], s[26:27]
	v_fma_f64 v[108:109], v[102:103], s[22:23], -v[74:75]
	v_add_f64 v[60:61], v[60:61], v[64:65]
	v_fma_f64 v[64:65], v[102:103], s[22:23], v[74:75]
	v_add_f64 v[76:77], v[78:79], v[76:77]
	v_fma_f64 v[78:79], v[92:93], s[4:5], v[124:125]
	v_add_f64 v[34:35], v[34:35], v[68:69]
	v_add_f64 v[56:57], v[56:57], v[62:63]
	v_fma_f64 v[62:63], v[98:99], s[20:21], -v[66:67]
	v_add_f64 v[74:75], v[28:29], v[108:109]
	v_add_f64 v[60:61], v[46:47], v[60:61]
	v_mul_f64 v[68:69], v[96:97], s[18:19]
	v_fma_f64 v[66:67], v[98:99], s[20:21], v[66:67]
	v_add_f64 v[76:77], v[78:79], v[76:77]
	v_fma_f64 v[78:79], v[100:101], s[20:21], -v[153:154]
	v_fma_f64 v[100:101], v[106:107], s[0:1], v[110:111]
	v_add_f64 v[28:29], v[28:29], v[64:65]
	v_add_f64 v[50:51], v[50:51], v[56:57]
	;; [unrolled: 1-line block ×4, first 2 shown]
	v_fma_f64 v[60:61], v[90:91], s[8:9], -v[68:69]
	v_mul_f64 v[64:65], v[94:95], s[14:15]
	v_add_f64 v[34:35], v[78:79], v[34:35]
	v_add_f64 v[46:47], v[100:101], v[76:77]
	v_fma_f64 v[76:77], v[88:89], s[8:9], -v[159:160]
	v_fma_f64 v[68:69], v[90:91], s[8:9], v[68:69]
	v_add_f64 v[28:29], v[66:67], v[28:29]
	v_add_f64 v[42:43], v[80:81], v[42:43]
	;; [unrolled: 1-line block ×4, first 2 shown]
	v_fma_f64 v[60:61], v[84:85], s[6:7], -v[120:121]
	v_mul_f64 v[74:75], v[112:113], s[16:17]
	v_add_f64 v[34:35], v[76:77], v[34:35]
	v_fma_f64 v[66:67], v[86:87], s[6:7], -v[64:65]
	v_fma_f64 v[64:65], v[86:87], s[6:7], v[64:65]
	v_add_f64 v[28:29], v[68:69], v[28:29]
	v_add_f64 v[38:39], v[38:39], v[42:43]
	;; [unrolled: 1-line block ×3, first 2 shown]
	v_fma_f64 v[42:43], v[92:93], s[4:5], -v[124:125]
	v_mul_f64 v[62:63], v[122:123], s[24:25]
	v_add_f64 v[34:35], v[60:61], v[34:35]
	v_fma_f64 v[60:61], v[104:105], s[4:5], v[74:75]
	v_fma_f64 v[50:51], v[104:105], s[4:5], -v[74:75]
	v_add_f64 v[28:29], v[64:65], v[28:29]
	v_add_f64 v[38:39], v[40:41], v[38:39]
	;; [unrolled: 1-line block ×4, first 2 shown]
	v_fma_f64 v[40:41], v[106:107], s[0:1], -v[110:111]
	v_add_f64 v[34:35], v[42:43], v[34:35]
	v_fma_f64 v[42:43], v[116:117], s[0:1], v[62:63]
	v_mul_lo_u32 v140, s38, v55
	v_add_f64 v[28:29], v[60:61], v[28:29]
	v_add_f64 v[38:39], v[36:37], v[38:39]
	v_mad_u64_u32 v[54:55], s[12:13], s38, v54, 0
	v_fma_f64 v[58:59], v[116:117], s[0:1], -v[62:63]
	v_add_f64 v[50:51], v[50:51], v[56:57]
	v_mad_u64_u32 v[56:57], s[0:1], s2, v132, 0
	v_add3_u32 v55, v55, v140, v139
	v_add_f64 v[48:49], v[48:49], v[44:45]
	v_add_f64 v[36:37], v[40:41], v[34:35]
	v_mov_b32_e32 v34, v57
	v_mad_u64_u32 v[40:41], s[0:1], s3, v132, v[34:35]
	v_add_f64 v[34:35], v[42:43], v[28:29]
	v_lshlrev_b64 v[28:29], 4, v[54:55]
	v_add_f64 v[30:31], v[30:31], v[38:39]
	v_mov_b32_e32 v38, s11
	v_add_co_u32_e32 v39, vcc, s10, v28
	v_addc_co_u32_e32 v38, vcc, v38, v29, vcc
	v_lshlrev_b64 v[28:29], 4, v[52:53]
	v_mov_b32_e32 v57, v40
	v_add_co_u32_e32 v42, vcc, v39, v28
	v_add_u32_e32 v40, 13, v132
	v_addc_co_u32_e32 v43, vcc, v38, v29, vcc
	v_mad_u64_u32 v[38:39], s[0:1], s2, v40, 0
	v_add_f64 v[32:33], v[32:33], v[48:49]
	v_add_u32_e32 v48, 26, v132
	v_mad_u64_u32 v[39:40], s[0:1], s3, v40, v[39:40]
	v_lshlrev_b64 v[28:29], 4, v[56:57]
	v_mad_u64_u32 v[40:41], s[0:1], s2, v48, 0
	v_add_co_u32_e32 v28, vcc, v42, v28
	v_addc_co_u32_e32 v29, vcc, v43, v29, vcc
	global_store_dwordx4 v[28:29], v[30:33], off
	v_lshlrev_b64 v[28:29], 4, v[38:39]
	v_mov_b32_e32 v30, v41
	v_mad_u64_u32 v[30:31], s[0:1], s3, v48, v[30:31]
	v_add_u32_e32 v32, 39, v132
	v_add_co_u32_e32 v28, vcc, v42, v28
	v_mov_b32_e32 v41, v30
	v_mad_u64_u32 v[30:31], s[0:1], s2, v32, 0
	v_addc_co_u32_e32 v29, vcc, v43, v29, vcc
	global_store_dwordx4 v[28:29], v[34:37], off
	v_mad_u64_u32 v[31:32], s[0:1], s3, v32, v[31:32]
	v_add_u32_e32 v34, 52, v132
	v_lshlrev_b64 v[28:29], 4, v[40:41]
	v_mad_u64_u32 v[32:33], s[0:1], s2, v34, 0
	v_add_co_u32_e32 v28, vcc, v42, v28
	v_addc_co_u32_e32 v29, vcc, v43, v29, vcc
	global_store_dwordx4 v[28:29], v[70:73], off
	v_lshlrev_b64 v[28:29], 4, v[30:31]
	v_mov_b32_e32 v30, v33
	v_mad_u64_u32 v[30:31], s[0:1], s3, v34, v[30:31]
	v_add_co_u32_e32 v28, vcc, v42, v28
	v_addc_co_u32_e32 v29, vcc, v43, v29, vcc
	v_mov_b32_e32 v33, v30
	global_store_dwordx4 v[28:29], v[133:136], off
	v_lshlrev_b64 v[28:29], 4, v[32:33]
	v_add_u32_e32 v32, 0x41, v132
	v_mad_u64_u32 v[30:31], s[0:1], s2, v32, 0
	v_add_co_u32_e32 v28, vcc, v42, v28
	v_mad_u64_u32 v[31:32], s[0:1], s3, v32, v[31:32]
	v_addc_co_u32_e32 v29, vcc, v43, v29, vcc
	v_add_u32_e32 v34, 0x4e, v132
	v_mad_u64_u32 v[32:33], s[0:1], s2, v34, 0
	global_store_dwordx4 v[28:29], v[24:27], off
	v_add_f64 v[44:45], v[58:59], v[50:51]
	v_lshlrev_b64 v[24:25], 4, v[30:31]
	v_mov_b32_e32 v26, v33
	v_add_co_u32_e32 v24, vcc, v42, v24
	v_addc_co_u32_e32 v25, vcc, v43, v25, vcc
	global_store_dwordx4 v[24:25], v[12:15], off
	v_add_u32_e32 v24, 0x5b, v132
	v_mad_u64_u32 v[26:27], s[0:1], s3, v34, v[26:27]
	v_mad_u64_u32 v[14:15], s[0:1], s2, v24, 0
	v_mov_b32_e32 v33, v26
	v_lshlrev_b64 v[12:13], 4, v[32:33]
	v_mad_u64_u32 v[24:25], s[0:1], s3, v24, v[15:16]
	v_add_co_u32_e32 v12, vcc, v42, v12
	v_addc_co_u32_e32 v13, vcc, v43, v13, vcc
	v_add_u32_e32 v27, 0x68, v132
	v_mov_b32_e32 v15, v24
	v_mad_u64_u32 v[25:26], s[0:1], s2, v27, 0
	global_store_dwordx4 v[12:13], v[4:7], off
	s_nop 0
	v_lshlrev_b64 v[4:5], 4, v[14:15]
	v_mov_b32_e32 v6, v26
	v_add_co_u32_e32 v4, vcc, v42, v4
	v_addc_co_u32_e32 v5, vcc, v43, v5, vcc
	global_store_dwordx4 v[4:5], v[0:3], off
	v_add_u32_e32 v4, 0x75, v132
	v_mad_u64_u32 v[6:7], s[0:1], s3, v27, v[6:7]
	v_mad_u64_u32 v[2:3], s[0:1], s2, v4, 0
	v_mov_b32_e32 v26, v6
	v_add_u32_e32 v6, 0x82, v132
	v_mad_u64_u32 v[3:4], s[0:1], s3, v4, v[3:4]
	v_lshlrev_b64 v[0:1], 4, v[25:26]
	v_mad_u64_u32 v[4:5], s[0:1], s2, v6, 0
	v_add_co_u32_e32 v0, vcc, v42, v0
	v_addc_co_u32_e32 v1, vcc, v43, v1, vcc
	global_store_dwordx4 v[0:1], v[8:11], off
	v_lshlrev_b64 v[0:1], 4, v[2:3]
	v_mov_b32_e32 v2, v5
	v_mad_u64_u32 v[2:3], s[0:1], s3, v6, v[2:3]
	v_add_co_u32_e32 v0, vcc, v42, v0
	v_addc_co_u32_e32 v1, vcc, v43, v1, vcc
	v_mov_b32_e32 v5, v2
	global_store_dwordx4 v[0:1], v[16:19], off
	v_lshlrev_b64 v[0:1], 4, v[4:5]
	v_add_u32_e32 v4, 0x8f, v132
	v_mad_u64_u32 v[2:3], s[0:1], s2, v4, 0
	v_add_u32_e32 v6, 0x9c, v132
	v_add_co_u32_e32 v0, vcc, v42, v0
	v_mad_u64_u32 v[3:4], s[0:1], s3, v4, v[3:4]
	v_mad_u64_u32 v[4:5], s[0:1], s2, v6, 0
	v_addc_co_u32_e32 v1, vcc, v43, v1, vcc
	global_store_dwordx4 v[0:1], v[20:23], off
	v_lshlrev_b64 v[0:1], 4, v[2:3]
	v_mov_b32_e32 v2, v5
	v_mad_u64_u32 v[2:3], s[0:1], s3, v6, v[2:3]
	v_add_co_u32_e32 v0, vcc, v42, v0
	v_addc_co_u32_e32 v1, vcc, v43, v1, vcc
	v_mov_b32_e32 v5, v2
	global_store_dwordx4 v[0:1], v[126:129], off
	v_lshlrev_b64 v[0:1], 4, v[4:5]
	v_add_co_u32_e32 v0, vcc, v42, v0
	v_addc_co_u32_e32 v1, vcc, v43, v1, vcc
	global_store_dwordx4 v[0:1], v[44:47], off
.LBB0_14:
	s_endpgm
	.section	.rodata,"a",@progbits
	.p2align	6, 0x0
	.amdhsa_kernel fft_rtc_back_len169_factors_13_13_wgs_247_tpt_13_halfLds_dp_op_CI_CI_sbrr_dirReg
		.amdhsa_group_segment_fixed_size 0
		.amdhsa_private_segment_fixed_size 0
		.amdhsa_kernarg_size 104
		.amdhsa_user_sgpr_count 6
		.amdhsa_user_sgpr_private_segment_buffer 1
		.amdhsa_user_sgpr_dispatch_ptr 0
		.amdhsa_user_sgpr_queue_ptr 0
		.amdhsa_user_sgpr_kernarg_segment_ptr 1
		.amdhsa_user_sgpr_dispatch_id 0
		.amdhsa_user_sgpr_flat_scratch_init 0
		.amdhsa_user_sgpr_private_segment_size 0
		.amdhsa_uses_dynamic_stack 0
		.amdhsa_system_sgpr_private_segment_wavefront_offset 0
		.amdhsa_system_sgpr_workgroup_id_x 1
		.amdhsa_system_sgpr_workgroup_id_y 0
		.amdhsa_system_sgpr_workgroup_id_z 0
		.amdhsa_system_sgpr_workgroup_info 0
		.amdhsa_system_vgpr_workitem_id 0
		.amdhsa_next_free_vgpr 165
		.amdhsa_next_free_sgpr 48
		.amdhsa_reserve_vcc 1
		.amdhsa_reserve_flat_scratch 0
		.amdhsa_float_round_mode_32 0
		.amdhsa_float_round_mode_16_64 0
		.amdhsa_float_denorm_mode_32 3
		.amdhsa_float_denorm_mode_16_64 3
		.amdhsa_dx10_clamp 1
		.amdhsa_ieee_mode 1
		.amdhsa_fp16_overflow 0
		.amdhsa_exception_fp_ieee_invalid_op 0
		.amdhsa_exception_fp_denorm_src 0
		.amdhsa_exception_fp_ieee_div_zero 0
		.amdhsa_exception_fp_ieee_overflow 0
		.amdhsa_exception_fp_ieee_underflow 0
		.amdhsa_exception_fp_ieee_inexact 0
		.amdhsa_exception_int_div_zero 0
	.end_amdhsa_kernel
	.text
.Lfunc_end0:
	.size	fft_rtc_back_len169_factors_13_13_wgs_247_tpt_13_halfLds_dp_op_CI_CI_sbrr_dirReg, .Lfunc_end0-fft_rtc_back_len169_factors_13_13_wgs_247_tpt_13_halfLds_dp_op_CI_CI_sbrr_dirReg
                                        ; -- End function
	.section	.AMDGPU.csdata,"",@progbits
; Kernel info:
; codeLenInByte = 10564
; NumSgprs: 52
; NumVgprs: 165
; ScratchSize: 0
; MemoryBound: 1
; FloatMode: 240
; IeeeMode: 1
; LDSByteSize: 0 bytes/workgroup (compile time only)
; SGPRBlocks: 6
; VGPRBlocks: 41
; NumSGPRsForWavesPerEU: 52
; NumVGPRsForWavesPerEU: 165
; Occupancy: 1
; WaveLimiterHint : 1
; COMPUTE_PGM_RSRC2:SCRATCH_EN: 0
; COMPUTE_PGM_RSRC2:USER_SGPR: 6
; COMPUTE_PGM_RSRC2:TRAP_HANDLER: 0
; COMPUTE_PGM_RSRC2:TGID_X_EN: 1
; COMPUTE_PGM_RSRC2:TGID_Y_EN: 0
; COMPUTE_PGM_RSRC2:TGID_Z_EN: 0
; COMPUTE_PGM_RSRC2:TIDIG_COMP_CNT: 0
	.type	__hip_cuid_34bce6ac8f3378ab,@object ; @__hip_cuid_34bce6ac8f3378ab
	.section	.bss,"aw",@nobits
	.globl	__hip_cuid_34bce6ac8f3378ab
__hip_cuid_34bce6ac8f3378ab:
	.byte	0                               ; 0x0
	.size	__hip_cuid_34bce6ac8f3378ab, 1

	.ident	"AMD clang version 19.0.0git (https://github.com/RadeonOpenCompute/llvm-project roc-6.4.0 25133 c7fe45cf4b819c5991fe208aaa96edf142730f1d)"
	.section	".note.GNU-stack","",@progbits
	.addrsig
	.addrsig_sym __hip_cuid_34bce6ac8f3378ab
	.amdgpu_metadata
---
amdhsa.kernels:
  - .args:
      - .actual_access:  read_only
        .address_space:  global
        .offset:         0
        .size:           8
        .value_kind:     global_buffer
      - .offset:         8
        .size:           8
        .value_kind:     by_value
      - .actual_access:  read_only
        .address_space:  global
        .offset:         16
        .size:           8
        .value_kind:     global_buffer
      - .actual_access:  read_only
        .address_space:  global
        .offset:         24
        .size:           8
        .value_kind:     global_buffer
      - .actual_access:  read_only
        .address_space:  global
        .offset:         32
        .size:           8
        .value_kind:     global_buffer
      - .offset:         40
        .size:           8
        .value_kind:     by_value
      - .actual_access:  read_only
        .address_space:  global
        .offset:         48
        .size:           8
        .value_kind:     global_buffer
      - .actual_access:  read_only
        .address_space:  global
        .offset:         56
        .size:           8
        .value_kind:     global_buffer
      - .offset:         64
        .size:           4
        .value_kind:     by_value
      - .actual_access:  read_only
        .address_space:  global
        .offset:         72
        .size:           8
        .value_kind:     global_buffer
      - .actual_access:  read_only
        .address_space:  global
        .offset:         80
        .size:           8
        .value_kind:     global_buffer
      - .actual_access:  read_only
        .address_space:  global
        .offset:         88
        .size:           8
        .value_kind:     global_buffer
      - .actual_access:  write_only
        .address_space:  global
        .offset:         96
        .size:           8
        .value_kind:     global_buffer
    .group_segment_fixed_size: 0
    .kernarg_segment_align: 8
    .kernarg_segment_size: 104
    .language:       OpenCL C
    .language_version:
      - 2
      - 0
    .max_flat_workgroup_size: 247
    .name:           fft_rtc_back_len169_factors_13_13_wgs_247_tpt_13_halfLds_dp_op_CI_CI_sbrr_dirReg
    .private_segment_fixed_size: 0
    .sgpr_count:     52
    .sgpr_spill_count: 0
    .symbol:         fft_rtc_back_len169_factors_13_13_wgs_247_tpt_13_halfLds_dp_op_CI_CI_sbrr_dirReg.kd
    .uniform_work_group_size: 1
    .uses_dynamic_stack: false
    .vgpr_count:     165
    .vgpr_spill_count: 0
    .wavefront_size: 64
amdhsa.target:   amdgcn-amd-amdhsa--gfx906
amdhsa.version:
  - 1
  - 2
...

	.end_amdgpu_metadata
